;; amdgpu-corpus repo=ROCm/rocFFT kind=compiled arch=gfx1030 opt=O3
	.text
	.amdgcn_target "amdgcn-amd-amdhsa--gfx1030"
	.amdhsa_code_object_version 6
	.protected	fft_rtc_fwd_len704_factors_2_2_2_2_11_2_2_wgs_176_tpt_88_halfLds_sp_ip_CI_unitstride_sbrr_dirReg ; -- Begin function fft_rtc_fwd_len704_factors_2_2_2_2_11_2_2_wgs_176_tpt_88_halfLds_sp_ip_CI_unitstride_sbrr_dirReg
	.globl	fft_rtc_fwd_len704_factors_2_2_2_2_11_2_2_wgs_176_tpt_88_halfLds_sp_ip_CI_unitstride_sbrr_dirReg
	.p2align	8
	.type	fft_rtc_fwd_len704_factors_2_2_2_2_11_2_2_wgs_176_tpt_88_halfLds_sp_ip_CI_unitstride_sbrr_dirReg,@function
fft_rtc_fwd_len704_factors_2_2_2_2_11_2_2_wgs_176_tpt_88_halfLds_sp_ip_CI_unitstride_sbrr_dirReg: ; @fft_rtc_fwd_len704_factors_2_2_2_2_11_2_2_wgs_176_tpt_88_halfLds_sp_ip_CI_unitstride_sbrr_dirReg
; %bb.0:
	s_clause 0x2
	s_load_dwordx4 s[8:11], s[4:5], 0x0
	s_load_dwordx2 s[2:3], s[4:5], 0x50
	s_load_dwordx2 s[12:13], s[4:5], 0x18
	v_mul_u32_u24_e32 v1, 0x2e9, v0
	v_mov_b32_e32 v3, 0
	v_lshrrev_b32_e32 v21, 16, v1
	v_mov_b32_e32 v1, 0
	v_mov_b32_e32 v6, v3
	v_mov_b32_e32 v2, 0
	v_lshl_add_u32 v5, s6, 1, v21
	s_waitcnt lgkmcnt(0)
	v_cmp_lt_u64_e64 s0, s[10:11], 2
	s_and_b32 vcc_lo, exec_lo, s0
	s_cbranch_vccnz .LBB0_8
; %bb.1:
	s_load_dwordx2 s[0:1], s[4:5], 0x10
	v_mov_b32_e32 v1, 0
	s_add_u32 s6, s12, 8
	v_mov_b32_e32 v2, 0
	s_addc_u32 s7, s13, 0
	s_mov_b64 s[16:17], 1
	s_waitcnt lgkmcnt(0)
	s_add_u32 s14, s0, 8
	s_addc_u32 s15, s1, 0
.LBB0_2:                                ; =>This Inner Loop Header: Depth=1
	s_load_dwordx2 s[18:19], s[14:15], 0x0
                                        ; implicit-def: $vgpr7_vgpr8
	s_mov_b32 s0, exec_lo
	s_waitcnt lgkmcnt(0)
	v_or_b32_e32 v4, s19, v6
	v_cmpx_ne_u64_e32 0, v[3:4]
	s_xor_b32 s1, exec_lo, s0
	s_cbranch_execz .LBB0_4
; %bb.3:                                ;   in Loop: Header=BB0_2 Depth=1
	v_cvt_f32_u32_e32 v4, s18
	v_cvt_f32_u32_e32 v7, s19
	s_sub_u32 s0, 0, s18
	s_subb_u32 s20, 0, s19
	v_fmac_f32_e32 v4, 0x4f800000, v7
	v_rcp_f32_e32 v4, v4
	v_mul_f32_e32 v4, 0x5f7ffffc, v4
	v_mul_f32_e32 v7, 0x2f800000, v4
	v_trunc_f32_e32 v7, v7
	v_fmac_f32_e32 v4, 0xcf800000, v7
	v_cvt_u32_f32_e32 v7, v7
	v_cvt_u32_f32_e32 v4, v4
	v_mul_lo_u32 v8, s0, v7
	v_mul_hi_u32 v9, s0, v4
	v_mul_lo_u32 v10, s20, v4
	v_add_nc_u32_e32 v8, v9, v8
	v_mul_lo_u32 v9, s0, v4
	v_add_nc_u32_e32 v8, v8, v10
	v_mul_hi_u32 v10, v4, v9
	v_mul_lo_u32 v11, v4, v8
	v_mul_hi_u32 v12, v4, v8
	v_mul_hi_u32 v13, v7, v9
	v_mul_lo_u32 v9, v7, v9
	v_mul_hi_u32 v14, v7, v8
	v_mul_lo_u32 v8, v7, v8
	v_add_co_u32 v10, vcc_lo, v10, v11
	v_add_co_ci_u32_e32 v11, vcc_lo, 0, v12, vcc_lo
	v_add_co_u32 v9, vcc_lo, v10, v9
	v_add_co_ci_u32_e32 v9, vcc_lo, v11, v13, vcc_lo
	v_add_co_ci_u32_e32 v10, vcc_lo, 0, v14, vcc_lo
	v_add_co_u32 v8, vcc_lo, v9, v8
	v_add_co_ci_u32_e32 v9, vcc_lo, 0, v10, vcc_lo
	v_add_co_u32 v4, vcc_lo, v4, v8
	v_add_co_ci_u32_e32 v7, vcc_lo, v7, v9, vcc_lo
	v_mul_hi_u32 v8, s0, v4
	v_mul_lo_u32 v10, s20, v4
	v_mul_lo_u32 v9, s0, v7
	v_add_nc_u32_e32 v8, v8, v9
	v_mul_lo_u32 v9, s0, v4
	v_add_nc_u32_e32 v8, v8, v10
	v_mul_hi_u32 v10, v4, v9
	v_mul_lo_u32 v11, v4, v8
	v_mul_hi_u32 v12, v4, v8
	v_mul_hi_u32 v13, v7, v9
	v_mul_lo_u32 v9, v7, v9
	v_mul_hi_u32 v14, v7, v8
	v_mul_lo_u32 v8, v7, v8
	v_add_co_u32 v10, vcc_lo, v10, v11
	v_add_co_ci_u32_e32 v11, vcc_lo, 0, v12, vcc_lo
	v_add_co_u32 v9, vcc_lo, v10, v9
	v_add_co_ci_u32_e32 v9, vcc_lo, v11, v13, vcc_lo
	v_add_co_ci_u32_e32 v10, vcc_lo, 0, v14, vcc_lo
	v_add_co_u32 v8, vcc_lo, v9, v8
	v_add_co_ci_u32_e32 v9, vcc_lo, 0, v10, vcc_lo
	v_add_co_u32 v4, vcc_lo, v4, v8
	v_add_co_ci_u32_e32 v11, vcc_lo, v7, v9, vcc_lo
	v_mul_hi_u32 v13, v5, v4
	v_mad_u64_u32 v[9:10], null, v6, v4, 0
	v_mad_u64_u32 v[7:8], null, v5, v11, 0
	;; [unrolled: 1-line block ×3, first 2 shown]
	v_add_co_u32 v4, vcc_lo, v13, v7
	v_add_co_ci_u32_e32 v7, vcc_lo, 0, v8, vcc_lo
	v_add_co_u32 v4, vcc_lo, v4, v9
	v_add_co_ci_u32_e32 v4, vcc_lo, v7, v10, vcc_lo
	v_add_co_ci_u32_e32 v7, vcc_lo, 0, v12, vcc_lo
	v_add_co_u32 v4, vcc_lo, v4, v11
	v_add_co_ci_u32_e32 v9, vcc_lo, 0, v7, vcc_lo
	v_mul_lo_u32 v10, s19, v4
	v_mad_u64_u32 v[7:8], null, s18, v4, 0
	v_mul_lo_u32 v11, s18, v9
	v_sub_co_u32 v7, vcc_lo, v5, v7
	v_add3_u32 v8, v8, v11, v10
	v_sub_nc_u32_e32 v10, v6, v8
	v_subrev_co_ci_u32_e64 v10, s0, s19, v10, vcc_lo
	v_add_co_u32 v11, s0, v4, 2
	v_add_co_ci_u32_e64 v12, s0, 0, v9, s0
	v_sub_co_u32 v13, s0, v7, s18
	v_sub_co_ci_u32_e32 v8, vcc_lo, v6, v8, vcc_lo
	v_subrev_co_ci_u32_e64 v10, s0, 0, v10, s0
	v_cmp_le_u32_e32 vcc_lo, s18, v13
	v_cmp_eq_u32_e64 s0, s19, v8
	v_cndmask_b32_e64 v13, 0, -1, vcc_lo
	v_cmp_le_u32_e32 vcc_lo, s19, v10
	v_cndmask_b32_e64 v14, 0, -1, vcc_lo
	v_cmp_le_u32_e32 vcc_lo, s18, v7
	;; [unrolled: 2-line block ×3, first 2 shown]
	v_cndmask_b32_e64 v15, 0, -1, vcc_lo
	v_cmp_eq_u32_e32 vcc_lo, s19, v10
	v_cndmask_b32_e64 v7, v15, v7, s0
	v_cndmask_b32_e32 v10, v14, v13, vcc_lo
	v_add_co_u32 v13, vcc_lo, v4, 1
	v_add_co_ci_u32_e32 v14, vcc_lo, 0, v9, vcc_lo
	v_cmp_ne_u32_e32 vcc_lo, 0, v10
	v_cndmask_b32_e32 v8, v14, v12, vcc_lo
	v_cndmask_b32_e32 v10, v13, v11, vcc_lo
	v_cmp_ne_u32_e32 vcc_lo, 0, v7
	v_cndmask_b32_e32 v8, v9, v8, vcc_lo
	v_cndmask_b32_e32 v7, v4, v10, vcc_lo
.LBB0_4:                                ;   in Loop: Header=BB0_2 Depth=1
	s_andn2_saveexec_b32 s0, s1
	s_cbranch_execz .LBB0_6
; %bb.5:                                ;   in Loop: Header=BB0_2 Depth=1
	v_cvt_f32_u32_e32 v4, s18
	s_sub_i32 s1, 0, s18
	v_rcp_iflag_f32_e32 v4, v4
	v_mul_f32_e32 v4, 0x4f7ffffe, v4
	v_cvt_u32_f32_e32 v4, v4
	v_mul_lo_u32 v7, s1, v4
	v_mul_hi_u32 v7, v4, v7
	v_add_nc_u32_e32 v4, v4, v7
	v_mul_hi_u32 v4, v5, v4
	v_mul_lo_u32 v7, v4, s18
	v_add_nc_u32_e32 v8, 1, v4
	v_sub_nc_u32_e32 v7, v5, v7
	v_subrev_nc_u32_e32 v9, s18, v7
	v_cmp_le_u32_e32 vcc_lo, s18, v7
	v_cndmask_b32_e32 v7, v7, v9, vcc_lo
	v_cndmask_b32_e32 v4, v4, v8, vcc_lo
	v_cmp_le_u32_e32 vcc_lo, s18, v7
	v_add_nc_u32_e32 v8, 1, v4
	v_cndmask_b32_e32 v7, v4, v8, vcc_lo
	v_mov_b32_e32 v8, v3
.LBB0_6:                                ;   in Loop: Header=BB0_2 Depth=1
	s_or_b32 exec_lo, exec_lo, s0
	s_load_dwordx2 s[0:1], s[6:7], 0x0
	v_mul_lo_u32 v4, v8, s18
	v_mul_lo_u32 v11, v7, s19
	v_mad_u64_u32 v[9:10], null, v7, s18, 0
	s_add_u32 s16, s16, 1
	s_addc_u32 s17, s17, 0
	s_add_u32 s6, s6, 8
	s_addc_u32 s7, s7, 0
	;; [unrolled: 2-line block ×3, first 2 shown]
	v_add3_u32 v4, v10, v11, v4
	v_sub_co_u32 v5, vcc_lo, v5, v9
	v_sub_co_ci_u32_e32 v4, vcc_lo, v6, v4, vcc_lo
	s_waitcnt lgkmcnt(0)
	v_mul_lo_u32 v6, s1, v5
	v_mul_lo_u32 v4, s0, v4
	v_mad_u64_u32 v[1:2], null, s0, v5, v[1:2]
	v_cmp_ge_u64_e64 s0, s[16:17], s[10:11]
	s_and_b32 vcc_lo, exec_lo, s0
	v_add3_u32 v2, v6, v2, v4
	s_cbranch_vccnz .LBB0_9
; %bb.7:                                ;   in Loop: Header=BB0_2 Depth=1
	v_mov_b32_e32 v5, v7
	v_mov_b32_e32 v6, v8
	s_branch .LBB0_2
.LBB0_8:
	v_mov_b32_e32 v8, v6
	v_mov_b32_e32 v7, v5
.LBB0_9:
	s_lshl_b64 s[0:1], s[10:11], 3
	v_mul_hi_u32 v3, 0x2e8ba2f, v0
	s_add_u32 s0, s12, s0
	s_addc_u32 s1, s13, s1
	v_mov_b32_e32 v4, 0
	s_load_dwordx2 s[0:1], s[0:1], 0x0
	s_load_dwordx2 s[4:5], s[4:5], 0x20
	v_mov_b32_e32 v5, 0
                                        ; implicit-def: $vgpr20
                                        ; implicit-def: $vgpr18
                                        ; implicit-def: $vgpr16
                                        ; implicit-def: $vgpr14
	v_mul_u32_u24_e32 v3, 0x58, v3
	v_mov_b32_e32 v12, v5
	v_mov_b32_e32 v11, v4
	v_sub_nc_u32_e32 v0, v0, v3
	s_waitcnt lgkmcnt(0)
	v_mul_lo_u32 v6, s0, v8
	v_mul_lo_u32 v9, s1, v7
	v_mad_u64_u32 v[1:2], null, s0, v7, v[1:2]
	v_cmp_gt_u64_e32 vcc_lo, s[4:5], v[7:8]
	v_add3_u32 v2, v9, v2, v6
	v_mov_b32_e32 v10, v5
	v_mov_b32_e32 v7, v5
	;; [unrolled: 1-line block ×4, first 2 shown]
	v_lshlrev_b64 v[2:3], 3, v[1:2]
	s_and_saveexec_b32 s1, vcc_lo
; %bb.10:
	v_mov_b32_e32 v1, 0
	v_lshlrev_b64 v[4:5], 3, v[0:1]
	v_add_co_u32 v1, s0, s2, v2
	v_add_co_ci_u32_e64 v7, s0, s3, v3, s0
	v_add_co_u32 v6, s0, v1, v4
	v_add_co_ci_u32_e64 v7, s0, v7, v5, s0
	;; [unrolled: 2-line block ×4, first 2 shown]
	s_clause 0x7
	global_load_dwordx2 v[4:5], v[6:7], off
	global_load_dwordx2 v[9:10], v[6:7], off offset:704
	global_load_dwordx2 v[6:7], v[6:7], off offset:1408
	;; [unrolled: 1-line block ×7, first 2 shown]
; %bb.11:
	s_or_b32 exec_lo, exec_lo, s1
	v_and_b32_e32 v1, 1, v21
	s_waitcnt vmcnt(3)
	v_sub_f32_e32 v21, v4, v19
	v_sub_f32_e32 v23, v5, v20
	s_waitcnt vmcnt(2)
	v_sub_f32_e32 v19, v9, v17
	v_lshlrev_b32_e32 v32, 2, v0
	v_cmp_eq_u32_e64 s0, 1, v1
	v_add_nc_u32_e32 v24, 0x58, v0
	v_fma_f32 v22, v5, 2.0, -v23
	v_sub_f32_e32 v5, v10, v18
	v_fma_f32 v18, v9, 2.0, -v19
	v_cndmask_b32_e64 v30, 0, 0x2c0, s0
	s_waitcnt vmcnt(1)
	v_sub_f32_e32 v9, v6, v15
	v_add_nc_u32_e32 v27, 0xb0, v0
	s_waitcnt vmcnt(0)
	v_sub_f32_e32 v17, v11, v13
	v_add_nc_u32_e32 v26, 0x108, v0
	v_lshlrev_b32_e32 v1, 2, v30
	v_fma_f32 v8, v6, 2.0, -v9
	v_lshl_add_u32 v6, v0, 3, 0
	v_fma_f32 v20, v4, 2.0, -v21
	v_sub_f32_e32 v15, v7, v16
	v_add_nc_u32_e32 v25, 0, v1
	v_fma_f32 v16, v11, 2.0, -v17
	v_sub_nc_u32_e32 v31, v6, v32
	v_add_nc_u32_e32 v33, v6, v1
	v_sub_f32_e32 v13, v12, v14
	v_lshl_add_u32 v34, v24, 3, v25
	v_lshl_add_u32 v35, v27, 3, v25
	v_add_nc_u32_e32 v28, v31, v1
	v_lshl_add_u32 v36, v26, 3, v25
	ds_write_b64 v33, v[20:21]
	ds_write_b64 v34, v[18:19]
	;; [unrolled: 1-line block ×4, first 2 shown]
	v_add_nc_u32_e32 v37, 0x400, v28
	v_and_b32_e32 v16, 1, v0
	v_fma_f32 v4, v10, 2.0, -v5
	v_fma_f32 v14, v7, 2.0, -v15
	v_add_nc_u32_e32 v38, 0x600, v28
	v_add_nc_u32_e32 v29, v25, v32
	v_fma_f32 v12, v12, 2.0, -v13
	s_waitcnt lgkmcnt(0)
	s_barrier
	buffer_gl0_inv
	ds_read2_b32 v[6:7], v37 offset0:8 offset1:96
	ds_read2_b32 v[8:9], v28 offset0:88 offset1:176
	;; [unrolled: 1-line block ×3, first 2 shown]
	ds_read_b32 v18, v29
	ds_read_b32 v19, v28 offset:2464
	s_waitcnt lgkmcnt(0)
	s_barrier
	buffer_gl0_inv
	ds_write_b64 v33, v[22:23]
	ds_write_b64 v34, v[4:5]
	ds_write_b64 v35, v[14:15]
	v_lshlrev_b32_e32 v4, 3, v16
	ds_write_b64 v36, v[12:13]
	s_waitcnt lgkmcnt(0)
	s_barrier
	buffer_gl0_inv
	global_load_dwordx2 v[4:5], v4, s[8:9]
	ds_read2_b32 v[12:13], v37 offset0:8 offset1:96
	v_lshlrev_b32_e32 v35, 1, v0
	v_lshlrev_b32_e32 v24, 1, v24
	ds_read2_b32 v[14:15], v38 offset0:56 offset1:144
	v_lshlrev_b32_e32 v39, 1, v27
	v_lshlrev_b32_e32 v40, 1, v26
	ds_read_b32 v21, v29
	ds_read_b32 v22, v28 offset:2464
	v_and_or_b32 v17, 0xfc, v35, v16
	v_and_or_b32 v23, 0x1fc, v24, v16
	v_and_or_b32 v33, 0x3fc, v39, v16
	v_and_or_b32 v16, 0x3fc, v40, v16
	v_and_b32_e32 v20, 3, v0
	v_lshl_add_u32 v36, v17, 2, v25
	v_lshl_add_u32 v23, v23, 2, v25
	;; [unrolled: 1-line block ×4, first 2 shown]
	ds_read2_b32 v[16:17], v28 offset0:88 offset1:176
	v_lshlrev_b32_e32 v34, 3, v20
	s_waitcnt vmcnt(0) lgkmcnt(0)
	s_barrier
	buffer_gl0_inv
	v_cmp_gt_u32_e64 s0, 64, v0
	v_mul_f32_e32 v42, v13, v5
	v_mul_f32_e32 v43, v7, v5
	;; [unrolled: 1-line block ×8, first 2 shown]
	v_fma_f32 v7, v7, v4, -v42
	v_fmac_f32_e32 v43, v13, v4
	v_fma_f32 v10, v10, v4, -v44
	v_fmac_f32_e32 v45, v14, v4
	;; [unrolled: 2-line block ×4, first 2 shown]
	v_sub_f32_e32 v4, v18, v7
	v_sub_f32_e32 v14, v21, v43
	;; [unrolled: 1-line block ×8, first 2 shown]
	v_fma_f32 v5, v18, 2.0, -v4
	v_fma_f32 v18, v21, 2.0, -v14
	;; [unrolled: 1-line block ×8, first 2 shown]
	ds_write2_b32 v36, v5, v4 offset1:2
	ds_write2_b32 v23, v8, v7 offset1:2
	;; [unrolled: 1-line block ×4, first 2 shown]
	s_waitcnt lgkmcnt(0)
	s_barrier
	buffer_gl0_inv
	ds_read2_b32 v[4:5], v37 offset0:8 offset1:96
	ds_read2_b32 v[6:7], v28 offset0:88 offset1:176
	;; [unrolled: 1-line block ×3, first 2 shown]
	ds_read_b32 v21, v29
	ds_read_b32 v22, v28 offset:2464
	s_waitcnt lgkmcnt(0)
	s_barrier
	buffer_gl0_inv
	ds_write2_b32 v36, v18, v14 offset1:2
	ds_write2_b32 v23, v16, v10 offset1:2
	;; [unrolled: 1-line block ×4, first 2 shown]
	s_waitcnt lgkmcnt(0)
	s_barrier
	buffer_gl0_inv
	global_load_dwordx2 v[10:11], v34, s[8:9] offset:16
	ds_read2_b32 v[12:13], v37 offset0:8 offset1:96
	ds_read2_b32 v[14:15], v38 offset0:56 offset1:144
	ds_read_b32 v18, v29
	ds_read_b32 v19, v28 offset:2464
	v_and_or_b32 v16, 0xf8, v35, v20
	v_and_or_b32 v17, 0x1f8, v24, v20
	v_and_b32_e32 v41, 7, v0
	v_and_or_b32 v23, 0x3f8, v39, v20
	v_and_or_b32 v20, 0x3f8, v40, v20
	v_lshl_add_u32 v36, v16, 2, v25
	v_lshl_add_u32 v42, v17, 2, v25
	ds_read2_b32 v[16:17], v28 offset0:88 offset1:176
	v_lshlrev_b32_e32 v33, 3, v41
	v_lshl_add_u32 v23, v23, 2, v25
	v_lshl_add_u32 v20, v20, 2, v25
	s_waitcnt vmcnt(0) lgkmcnt(0)
	s_barrier
	buffer_gl0_inv
	v_mul_f32_e32 v34, v13, v11
	v_mul_f32_e32 v43, v5, v11
	;; [unrolled: 1-line block ×8, first 2 shown]
	v_fma_f32 v5, v5, v10, -v34
	v_fmac_f32_e32 v43, v13, v10
	v_fma_f32 v8, v8, v10, -v44
	v_fmac_f32_e32 v45, v14, v10
	;; [unrolled: 2-line block ×4, first 2 shown]
	v_sub_f32_e32 v5, v21, v5
	v_sub_f32_e32 v10, v18, v43
	v_sub_f32_e32 v8, v6, v8
	v_sub_f32_e32 v14, v16, v45
	v_sub_f32_e32 v9, v7, v9
	v_sub_f32_e32 v15, v17, v47
	v_sub_f32_e32 v13, v4, v13
	v_sub_f32_e32 v22, v12, v11
	v_fma_f32 v11, v21, 2.0, -v5
	v_fma_f32 v21, v18, 2.0, -v10
	;; [unrolled: 1-line block ×8, first 2 shown]
	ds_write2_b32 v36, v11, v5 offset1:4
	ds_write2_b32 v42, v6, v8 offset1:4
	;; [unrolled: 1-line block ×4, first 2 shown]
	s_waitcnt lgkmcnt(0)
	s_barrier
	buffer_gl0_inv
	ds_read2_b32 v[18:19], v37 offset0:8 offset1:96
	ds_read2_b32 v[11:12], v28 offset0:88 offset1:176
	;; [unrolled: 1-line block ×3, first 2 shown]
	ds_read_b32 v5, v29
	ds_read_b32 v34, v28 offset:2464
	s_waitcnt lgkmcnt(0)
	s_barrier
	buffer_gl0_inv
	ds_write2_b32 v36, v21, v10 offset1:4
	ds_write2_b32 v42, v43, v14 offset1:4
	;; [unrolled: 1-line block ×4, first 2 shown]
	s_waitcnt lgkmcnt(0)
	s_barrier
	buffer_gl0_inv
	global_load_dwordx2 v[20:21], v33, s[8:9] offset:48
	ds_read2_b32 v[14:15], v37 offset0:8 offset1:96
	ds_read2_b32 v[22:23], v38 offset0:56 offset1:144
	ds_read_b32 v36, v28 offset:2464
	ds_read_b32 v33, v29
	v_and_or_b32 v4, 0xf0, v35, v41
	v_and_or_b32 v6, 0x1f0, v24, v41
	;; [unrolled: 1-line block ×4, first 2 shown]
                                        ; implicit-def: $vgpr13
	v_lshl_add_u32 v37, v4, 2, v25
	v_lshl_add_u32 v38, v6, 2, v25
	;; [unrolled: 1-line block ×4, first 2 shown]
	ds_read2_b32 v[24:25], v28 offset0:88 offset1:176
	s_waitcnt vmcnt(0) lgkmcnt(0)
	s_barrier
	buffer_gl0_inv
	v_mul_f32_e32 v4, v15, v21
	v_mul_f32_e32 v6, v22, v21
	;; [unrolled: 1-line block ×4, first 2 shown]
	v_fma_f32 v4, v19, v20, -v4
	v_fma_f32 v6, v16, v20, -v6
	v_fma_f32 v7, v17, v20, -v7
	v_fma_f32 v8, v34, v20, -v8
	v_sub_f32_e32 v10, v5, v4
	v_sub_f32_e32 v4, v11, v6
	;; [unrolled: 1-line block ×4, first 2 shown]
	v_fma_f32 v35, v5, 2.0, -v10
	v_fma_f32 v11, v11, 2.0, -v4
	;; [unrolled: 1-line block ×4, first 2 shown]
	ds_write2_b32 v37, v35, v10 offset1:8
	ds_write2_b32 v38, v11, v4 offset1:8
	;; [unrolled: 1-line block ×4, first 2 shown]
	s_waitcnt lgkmcnt(0)
	s_barrier
	buffer_gl0_inv
	s_and_saveexec_b32 s1, s0
	s_cbranch_execz .LBB0_13
; %bb.12:
	v_add3_u32 v12, 0, v32, v1
	ds_read_b32 v35, v29
	ds_read2st64_b32 v[10:11], v12 offset0:1 offset1:2
	ds_read2st64_b32 v[4:5], v12 offset0:3 offset1:4
	;; [unrolled: 1-line block ×5, first 2 shown]
.LBB0_13:
	s_or_b32 exec_lo, exec_lo, s1
	v_mul_f32_e32 v18, v19, v21
	v_mul_f32_e32 v16, v16, v21
	;; [unrolled: 1-line block ×4, first 2 shown]
	s_waitcnt lgkmcnt(0)
	v_fmac_f32_e32 v18, v15, v20
	v_fmac_f32_e32 v16, v22, v20
	;; [unrolled: 1-line block ×4, first 2 shown]
	s_barrier
	v_sub_f32_e32 v21, v33, v18
	v_sub_f32_e32 v15, v24, v16
	;; [unrolled: 1-line block ×4, first 2 shown]
	buffer_gl0_inv
	v_fma_f32 v33, v33, 2.0, -v21
	v_fma_f32 v22, v24, 2.0, -v15
	;; [unrolled: 1-line block ×4, first 2 shown]
                                        ; implicit-def: $vgpr24
	ds_write2_b32 v37, v33, v21 offset1:8
	ds_write2_b32 v38, v22, v15 offset1:8
	;; [unrolled: 1-line block ×4, first 2 shown]
	s_waitcnt lgkmcnt(0)
	s_barrier
	buffer_gl0_inv
	s_and_saveexec_b32 s1, s0
	s_cbranch_execz .LBB0_15
; %bb.14:
	v_add3_u32 v14, 0, v32, v1
	ds_read_b32 v33, v29
	ds_read2st64_b32 v[21:22], v14 offset0:1 offset1:2
	ds_read2st64_b32 v[15:16], v14 offset0:3 offset1:4
	;; [unrolled: 1-line block ×5, first 2 shown]
.LBB0_15:
	s_or_b32 exec_lo, exec_lo, s1
	v_and_b32_e32 v14, 15, v0
	v_mul_u32_u24_e32 v25, 10, v14
	v_lshlrev_b32_e32 v25, 3, v25
	s_clause 0x4
	global_load_dwordx4 v[45:48], v25, s[8:9] offset:112
	global_load_dwordx4 v[49:52], v25, s[8:9] offset:128
	;; [unrolled: 1-line block ×5, first 2 shown]
	s_waitcnt vmcnt(0) lgkmcnt(0)
	s_barrier
	buffer_gl0_inv
	v_mul_f32_e32 v39, v21, v46
	v_mul_f32_e32 v40, v22, v48
	;; [unrolled: 1-line block ×17, first 2 shown]
	v_fma_f32 v44, v10, v45, -v39
	v_fma_f32 v42, v11, v47, -v40
	v_mul_f32_e32 v39, v12, v62
	v_mul_f32_e32 v10, v24, v64
	;; [unrolled: 1-line block ×3, first 2 shown]
	v_fmac_f32_e32 v43, v21, v45
	v_fmac_f32_e32 v41, v22, v47
	v_fma_f32 v22, v4, v49, -v46
	v_fmac_f32_e32 v37, v15, v49
	v_fma_f32 v21, v5, v51, -v48
	;; [unrolled: 2-line block ×8, first 2 shown]
	v_fmac_f32_e32 v40, v24, v63
	v_lshrrev_b32_e32 v10, 4, v0
	s_and_saveexec_b32 s1, s0
	s_cbranch_execz .LBB0_17
; %bb.16:
	v_sub_f32_e32 v4, v43, v40
	v_add_f32_e32 v5, v44, v13
	v_sub_f32_e32 v7, v41, v39
	v_add_f32_e32 v6, v42, v12
	v_sub_f32_e32 v18, v37, v38
	v_mul_f32_e32 v9, 0xbe903f40, v4
	v_add_f32_e32 v8, v22, v17
	v_mul_f32_e32 v23, 0x3f0a6770, v7
	v_sub_f32_e32 v20, v34, v36
	v_mul_f32_e32 v47, 0xbf4178ce, v18
	v_fmamk_f32 v24, v5, 0xbf75a155, v9
	v_fma_f32 v9, 0xbf75a155, v5, -v9
	v_fmamk_f32 v48, v6, 0x3f575c64, v23
	v_fma_f32 v23, 0x3f575c64, v6, -v23
	v_add_f32_e32 v19, v21, v16
	v_add_f32_e32 v24, v35, v24
	;; [unrolled: 1-line block ×3, first 2 shown]
	v_sub_f32_e32 v46, v25, v32
	v_mul_f32_e32 v49, 0x3f68dda4, v20
	v_fmamk_f32 v51, v8, 0xbf27a4f4, v47
	v_add_f32_e32 v24, v48, v24
	v_fma_f32 v47, 0xbf27a4f4, v8, -v47
	v_add_f32_e32 v9, v23, v9
	v_add_f32_e32 v45, v11, v15
	v_mul_f32_e32 v50, 0xbf7d64f0, v46
	v_mul_f32_e32 v48, 0xbf4178ce, v4
	v_fmamk_f32 v52, v19, 0x3ed4b147, v49
	v_add_f32_e32 v24, v51, v24
	v_fma_f32 v49, 0x3ed4b147, v19, -v49
	v_add_f32_e32 v9, v47, v9
	v_fmamk_f32 v51, v45, 0xbe11bafb, v50
	v_fmamk_f32 v23, v5, 0xbf27a4f4, v48
	v_add_f32_e32 v24, v52, v24
	v_mul_f32_e32 v52, 0x3f7d64f0, v7
	v_add_f32_e32 v9, v49, v9
	v_fma_f32 v49, 0xbe11bafb, v45, -v50
	v_fma_f32 v48, 0xbf27a4f4, v5, -v48
	v_add_f32_e32 v24, v51, v24
	v_mul_f32_e32 v51, 0xbf0a6770, v18
	v_add_f32_e32 v23, v35, v23
	v_add_f32_e32 v9, v49, v9
	;; [unrolled: 1-line block ×3, first 2 shown]
	v_fma_f32 v49, 0xbe11bafb, v6, -v52
	v_fmamk_f32 v47, v6, 0xbe11bafb, v52
	v_mul_f32_e32 v50, 0xbe903f40, v20
	v_mul_f32_e32 v52, 0xbf7d64f0, v4
	;; [unrolled: 1-line block ×3, first 2 shown]
	v_add_f32_e32 v48, v49, v48
	v_fma_f32 v49, 0x3f575c64, v8, -v51
	v_add_f32_e32 v23, v47, v23
	v_fmamk_f32 v47, v8, 0x3f575c64, v51
	v_mul_f32_e32 v51, 0x3e903f40, v7
	v_mul_f32_e32 v53, 0x3f68dda4, v46
	v_add_f32_e32 v48, v49, v48
	v_fma_f32 v49, 0xbf75a155, v19, -v50
	v_add_f32_e32 v23, v47, v23
	v_fmamk_f32 v47, v19, 0xbf75a155, v50
	v_fmamk_f32 v50, v6, 0xbf75a155, v51
	v_fma_f32 v51, 0xbf75a155, v6, -v51
	v_add_f32_e32 v48, v49, v48
	v_fma_f32 v49, 0xbe11bafb, v5, -v52
	v_add_f32_e32 v23, v47, v23
	v_fmamk_f32 v47, v5, 0xbe11bafb, v52
	v_mul_f32_e32 v52, 0xbf0a6770, v20
	v_fmamk_f32 v54, v45, 0x3ed4b147, v53
	v_add_f32_e32 v49, v35, v49
	v_fma_f32 v53, 0x3ed4b147, v45, -v53
	v_add_f32_e32 v47, v35, v47
	v_mul_f32_e32 v56, 0x3e903f40, v18
	v_add_f32_e32 v23, v54, v23
	v_add_f32_e32 v49, v51, v49
	v_fma_f32 v51, 0x3ed4b147, v8, -v55
	v_add_f32_e32 v47, v50, v47
	v_fmamk_f32 v50, v8, 0x3ed4b147, v55
	v_mul_f32_e32 v55, 0xbf4178ce, v46
	v_mul_f32_e32 v54, 0xbf68dda4, v4
	v_add_f32_e32 v49, v51, v49
	v_fma_f32 v51, 0x3f575c64, v19, -v52
	v_add_f32_e32 v47, v50, v47
	v_fmamk_f32 v57, v45, 0xbf27a4f4, v55
	v_fma_f32 v55, 0xbf27a4f4, v45, -v55
	v_fmamk_f32 v50, v19, 0x3f575c64, v52
	v_add_f32_e32 v49, v51, v49
	v_add_f32_e32 v48, v53, v48
	v_mul_f32_e32 v53, 0xbf4178ce, v7
	v_fma_f32 v51, 0x3ed4b147, v5, -v54
	v_add_f32_e32 v47, v50, v47
	v_add_f32_e32 v49, v55, v49
	;; [unrolled: 1-line block ×3, first 2 shown]
	v_fmamk_f32 v50, v5, 0x3ed4b147, v54
	v_fmamk_f32 v52, v6, 0xbf27a4f4, v53
	v_add_f32_e32 v51, v35, v51
	v_fma_f32 v53, 0xbf27a4f4, v6, -v53
	v_add_f32_e32 v55, v55, v42
	v_add_f32_e32 v50, v35, v50
	v_mul_f32_e32 v4, 0xbf0a6770, v4
	v_mul_f32_e32 v54, 0x3f7d64f0, v20
	v_add_f32_e32 v51, v53, v51
	v_add_f32_e32 v55, v55, v22
	;; [unrolled: 1-line block ×3, first 2 shown]
	v_fmamk_f32 v52, v8, 0xbf75a155, v56
	v_fma_f32 v53, 0xbf75a155, v8, -v56
	v_fmamk_f32 v56, v5, 0x3f575c64, v4
	v_fma_f32 v4, 0x3f575c64, v5, -v4
	v_add_f32_e32 v5, v55, v21
	v_add_f32_e32 v50, v52, v50
	v_fmamk_f32 v52, v19, 0xbe11bafb, v54
	v_add_f32_e32 v51, v53, v51
	v_fma_f32 v53, 0xbe11bafb, v19, -v54
	v_mul_f32_e32 v7, 0xbf68dda4, v7
	v_add_f32_e32 v5, v5, v11
	v_add_f32_e32 v50, v52, v50
	v_mul_f32_e32 v52, 0x3f0a6770, v46
	v_add_f32_e32 v51, v53, v51
	v_add_f32_e32 v53, v35, v56
	v_fmamk_f32 v55, v6, 0x3ed4b147, v7
	v_mul_f32_e32 v18, 0xbf7d64f0, v18
	v_add_f32_e32 v4, v35, v4
	v_fma_f32 v6, 0x3ed4b147, v6, -v7
	v_add_f32_e32 v5, v5, v15
	v_fmamk_f32 v54, v45, 0x3f575c64, v52
	v_fma_f32 v7, 0x3f575c64, v45, -v52
	v_add_f32_e32 v35, v55, v53
	v_fmamk_f32 v52, v8, 0xbe11bafb, v18
	v_add_f32_e32 v4, v6, v4
	v_fma_f32 v6, 0xbe11bafb, v8, -v18
	v_mul_f32_e32 v8, 0xbf4178ce, v20
	v_add_f32_e32 v5, v5, v16
	v_mul_u32_u24_e32 v20, 0xb0, v10
	v_add_f32_e32 v18, v52, v35
	v_add_f32_e32 v4, v6, v4
	v_fma_f32 v6, 0xbf27a4f4, v19, -v8
	v_mul_f32_e32 v35, 0xbe903f40, v46
	v_add_f32_e32 v5, v5, v17
	v_or_b32_e32 v20, v20, v14
	v_fmamk_f32 v8, v19, 0xbf27a4f4, v8
	v_add_f32_e32 v4, v6, v4
	v_fma_f32 v6, 0xbf75a155, v45, -v35
	v_add_f32_e32 v5, v5, v12
	v_lshlrev_b32_e32 v19, 2, v20
	v_add_f32_e32 v8, v8, v18
	v_fmamk_f32 v18, v45, 0xbf75a155, v35
	v_add_f32_e32 v4, v6, v4
	v_add_f32_e32 v5, v5, v13
	v_add3_u32 v6, 0, v19, v1
	v_add_f32_e32 v7, v7, v51
	v_add_f32_e32 v19, v57, v47
	;; [unrolled: 1-line block ×4, first 2 shown]
	ds_write2_b32 v6, v5, v4 offset1:16
	ds_write2_b32 v6, v7, v49 offset0:32 offset1:48
	ds_write2_b32 v6, v48, v9 offset0:64 offset1:80
	;; [unrolled: 1-line block ×4, first 2 shown]
	ds_write_b32 v6, v8 offset:640
.LBB0_17:
	s_or_b32 exec_lo, exec_lo, s1
	v_add_nc_u32_e32 v18, 0x400, v28
	v_add_nc_u32_e32 v19, 0x600, v28
	s_waitcnt lgkmcnt(0)
	s_barrier
	buffer_gl0_inv
	ds_read2_b32 v[4:5], v18 offset0:8 offset1:96
	ds_read2_b32 v[6:7], v28 offset0:88 offset1:176
	;; [unrolled: 1-line block ×3, first 2 shown]
	ds_read_b32 v20, v29
	ds_read_b32 v23, v28 offset:2464
	s_waitcnt lgkmcnt(0)
	s_barrier
	buffer_gl0_inv
	s_and_saveexec_b32 s1, s0
	s_cbranch_execz .LBB0_19
; %bb.18:
	v_add_f32_e32 v24, v33, v43
	v_sub_f32_e32 v13, v44, v13
	v_add_f32_e32 v35, v43, v40
	v_add_f32_e32 v43, v41, v39
	v_sub_f32_e32 v12, v42, v12
	v_add_f32_e32 v24, v24, v41
	v_mul_f32_e32 v41, 0xbf0a6770, v13
	v_mul_f32_e32 v42, 0xbf68dda4, v13
	;; [unrolled: 1-line block ×4, first 2 shown]
	v_add_f32_e32 v24, v24, v37
	v_mul_f32_e32 v13, 0xbe903f40, v13
	v_mul_f32_e32 v46, 0xbf68dda4, v12
	v_fmamk_f32 v49, v35, 0x3f575c64, v41
	v_fma_f32 v41, 0x3f575c64, v35, -v41
	v_add_f32_e32 v24, v24, v34
	v_mul_f32_e32 v47, 0xbf4178ce, v12
	v_fmamk_f32 v50, v35, 0x3ed4b147, v42
	v_fma_f32 v42, 0x3ed4b147, v35, -v42
	v_fmamk_f32 v51, v35, 0xbe11bafb, v44
	v_add_f32_e32 v24, v24, v25
	v_fma_f32 v44, 0xbe11bafb, v35, -v44
	v_fmamk_f32 v52, v35, 0xbf27a4f4, v45
	v_fma_f32 v45, 0xbf27a4f4, v35, -v45
	v_fmamk_f32 v53, v35, 0xbf75a155, v13
	v_add_f32_e32 v24, v24, v32
	v_fma_f32 v13, 0xbf75a155, v35, -v13
	v_fmamk_f32 v35, v43, 0x3ed4b147, v46
	v_fma_f32 v46, 0x3ed4b147, v43, -v46
	v_add_f32_e32 v49, v33, v49
	v_add_f32_e32 v24, v24, v36
	;; [unrolled: 1-line block ×10, first 2 shown]
	v_mul_f32_e32 v48, 0x3e903f40, v12
	v_add_f32_e32 v24, v24, v39
	v_add_f32_e32 v39, v33, v45
	;; [unrolled: 1-line block ×6, first 2 shown]
	v_fma_f32 v40, 0xbf27a4f4, v43, -v47
	v_mul_f32_e32 v41, 0x3f7d64f0, v12
	v_mul_f32_e32 v12, 0x3f0a6770, v12
	v_sub_f32_e32 v17, v22, v17
	v_add_f32_e32 v37, v37, v38
	v_add_f32_e32 v40, v40, v42
	v_fmamk_f32 v42, v43, 0xbe11bafb, v41
	v_fma_f32 v41, 0xbe11bafb, v43, -v41
	v_mul_f32_e32 v38, 0xbf7d64f0, v17
	v_fmamk_f32 v54, v43, 0xbf27a4f4, v47
	v_fmamk_f32 v46, v43, 0xbf75a155, v48
	v_add_f32_e32 v22, v42, v52
	v_fmamk_f32 v42, v43, 0x3f575c64, v12
	v_fma_f32 v12, 0x3f575c64, v43, -v12
	v_add_f32_e32 v39, v41, v39
	v_fma_f32 v48, 0xbf75a155, v43, -v48
	v_fmamk_f32 v43, v37, 0xbe11bafb, v38
	v_add_f32_e32 v41, v42, v45
	v_mul_f32_e32 v42, 0x3e903f40, v17
	v_add_f32_e32 v12, v12, v13
	v_fma_f32 v13, 0xbe11bafb, v37, -v38
	v_mul_f32_e32 v38, 0x3f68dda4, v17
	v_add_f32_e32 v44, v48, v44
	v_fmamk_f32 v45, v37, 0xbf75a155, v42
	v_fma_f32 v42, 0xbf75a155, v37, -v42
	v_add_f32_e32 v13, v13, v35
	v_fmamk_f32 v35, v37, 0x3ed4b147, v38
	v_fma_f32 v38, 0x3ed4b147, v37, -v38
	v_sub_f32_e32 v16, v21, v16
	v_add_f32_e32 v40, v42, v40
	v_mul_f32_e32 v42, 0xbf0a6770, v17
	v_mul_f32_e32 v17, 0xbf4178ce, v17
	v_add_f32_e32 v38, v38, v44
	v_add_f32_e32 v34, v34, v36
	v_mul_f32_e32 v36, 0xbf4178ce, v16
	v_fmamk_f32 v21, v37, 0x3f575c64, v42
	v_fma_f32 v42, 0x3f575c64, v37, -v42
	v_fmamk_f32 v44, v37, 0xbf27a4f4, v17
	v_add_f32_e32 v33, v43, v33
	v_fma_f32 v17, 0xbf27a4f4, v37, -v17
	v_add_f32_e32 v21, v21, v22
	v_add_f32_e32 v22, v42, v39
	;; [unrolled: 1-line block ×3, first 2 shown]
	v_fmamk_f32 v39, v34, 0xbf27a4f4, v36
	v_mul_f32_e32 v41, 0x3f7d64f0, v16
	v_add_f32_e32 v46, v46, v51
	v_add_f32_e32 v12, v17, v12
	v_fma_f32 v17, 0xbf27a4f4, v34, -v36
	v_mul_f32_e32 v36, 0xbf0a6770, v16
	v_add_f32_e32 v33, v39, v33
	v_fmamk_f32 v39, v34, 0xbe11bafb, v41
	v_fma_f32 v41, 0xbe11bafb, v34, -v41
	v_add_f32_e32 v35, v35, v46
	v_add_f32_e32 v13, v17, v13
	v_fmamk_f32 v17, v34, 0x3f575c64, v36
	v_fma_f32 v36, 0x3f575c64, v34, -v36
	v_add_f32_e32 v40, v41, v40
	v_mul_f32_e32 v41, 0xbe903f40, v16
	v_sub_f32_e32 v11, v11, v15
	v_mul_f32_e32 v15, 0x3f68dda4, v16
	v_add_f32_e32 v17, v17, v35
	v_add_f32_e32 v35, v36, v38
	v_fmamk_f32 v16, v34, 0xbf75a155, v41
	v_fma_f32 v36, 0xbf75a155, v34, -v41
	v_add_f32_e32 v25, v25, v32
	v_mul_f32_e32 v32, 0xbe903f40, v11
	v_fmamk_f32 v38, v34, 0x3ed4b147, v15
	v_fma_f32 v15, 0x3ed4b147, v34, -v15
	v_mul_u32_u24_e32 v10, 0xb0, v10
	v_add_f32_e32 v47, v54, v50
	v_add_f32_e32 v16, v16, v21
	;; [unrolled: 1-line block ×3, first 2 shown]
	v_fmamk_f32 v22, v25, 0xbf75a155, v32
	v_add_f32_e32 v12, v15, v12
	v_fma_f32 v15, 0xbf75a155, v25, -v32
	v_mul_f32_e32 v32, 0xbf4178ce, v11
	v_or_b32_e32 v10, v10, v14
	v_add_f32_e32 v43, v45, v47
	v_mul_f32_e32 v36, 0x3f0a6770, v11
	v_add_f32_e32 v34, v38, v37
	v_add_f32_e32 v13, v15, v13
	v_fmamk_f32 v15, v25, 0xbf27a4f4, v32
	v_mul_f32_e32 v37, 0x3f68dda4, v11
	v_mul_f32_e32 v11, 0xbf7d64f0, v11
	v_lshlrev_b32_e32 v10, 2, v10
	v_add_f32_e32 v39, v39, v43
	v_add_f32_e32 v22, v22, v33
	v_fmamk_f32 v33, v25, 0x3f575c64, v36
	v_add_f32_e32 v14, v15, v17
	v_fma_f32 v15, 0xbf27a4f4, v25, -v32
	v_fmamk_f32 v17, v25, 0x3ed4b147, v37
	v_fma_f32 v32, 0x3ed4b147, v25, -v37
	v_fmamk_f32 v37, v25, 0xbe11bafb, v11
	v_fma_f32 v11, 0xbe11bafb, v25, -v11
	v_fma_f32 v36, 0x3f575c64, v25, -v36
	v_add3_u32 v1, 0, v10, v1
	v_add_f32_e32 v33, v33, v39
	v_add_f32_e32 v16, v17, v16
	v_add_f32_e32 v17, v37, v34
	v_add_f32_e32 v10, v32, v21
	v_add_f32_e32 v11, v11, v12
	v_add_f32_e32 v36, v36, v40
	v_add_f32_e32 v12, v15, v35
	ds_write2_b32 v1, v24, v22 offset1:16
	ds_write2_b32 v1, v33, v14 offset0:32 offset1:48
	ds_write2_b32 v1, v16, v17 offset0:64 offset1:80
	;; [unrolled: 1-line block ×4, first 2 shown]
	ds_write_b32 v1, v13 offset:640
.LBB0_19:
	s_or_b32 exec_lo, exec_lo, s1
	v_mov_b32_e32 v1, 0
	s_waitcnt lgkmcnt(0)
	s_barrier
	buffer_gl0_inv
	v_lshl_add_u32 v34, v30, 2, v31
	v_lshlrev_b64 v[10:11], 3, v[0:1]
	v_add_nc_u32_e32 v36, 0x200, v28
	v_add_nc_u32_e32 v37, 0x400, v34
	v_add_co_u32 v12, s0, s8, v10
	v_add_co_ci_u32_e64 v13, s0, s9, v11, s0
	v_add_co_u32 v14, s0, 0x2c0, v12
	v_add_co_ci_u32_e64 v15, s0, 0, v13, s0
	s_clause 0x1
	global_load_dwordx2 v[16:17], v[12:13], off offset:1392
	global_load_dwordx2 v[21:22], v[14:15], off offset:1392
	ds_read2_b32 v[24:25], v18 offset0:8 offset1:96
	ds_read2_b32 v[32:33], v19 offset0:56 offset1:144
	ds_read_b32 v0, v28 offset:2464
	ds_read_b32 v35, v29
	ds_read2_b32 v[30:31], v28 offset0:88 offset1:176
	s_waitcnt vmcnt(0) lgkmcnt(0)
	s_barrier
	buffer_gl0_inv
	v_mul_f32_e32 v38, v25, v17
	v_mul_f32_e32 v39, v5, v17
	;; [unrolled: 1-line block ×5, first 2 shown]
	v_fma_f32 v5, v5, v16, -v38
	v_mul_f32_e32 v38, v0, v22
	v_fmac_f32_e32 v39, v25, v16
	v_mul_f32_e32 v25, v8, v22
	v_fma_f32 v9, v9, v16, -v40
	v_mul_f32_e32 v22, v23, v22
	v_fma_f32 v8, v8, v21, -v17
	v_fmac_f32_e32 v41, v33, v16
	v_fma_f32 v16, v23, v21, -v38
	v_sub_f32_e32 v5, v20, v5
	v_fmac_f32_e32 v22, v0, v21
	v_sub_f32_e32 v0, v7, v9
	v_sub_f32_e32 v8, v6, v8
	v_sub_f32_e32 v9, v4, v16
	v_fma_f32 v16, v20, 2.0, -v5
	v_fmac_f32_e32 v25, v32, v21
	v_fma_f32 v7, v7, 2.0, -v0
	v_fma_f32 v6, v6, 2.0, -v8
	;; [unrolled: 1-line block ×3, first 2 shown]
	ds_write_b32 v28, v0 offset:2112
	ds_write2_b32 v36, v5, v7 offset0:48 offset1:224
	ds_write_b32 v34, v9 offset:2464
	ds_write2_b32 v28, v16, v6 offset1:88
	ds_write2_b32 v37, v8, v4 offset0:8 offset1:184
	s_waitcnt lgkmcnt(0)
	s_barrier
	buffer_gl0_inv
	ds_read2_b32 v[6:7], v18 offset0:8 offset1:96
	ds_read2_b32 v[4:5], v28 offset0:88 offset1:176
	;; [unrolled: 1-line block ×3, first 2 shown]
	ds_read_b32 v16, v29
	ds_read_b32 v17, v28 offset:2464
	v_sub_f32_e32 v21, v35, v39
	v_sub_f32_e32 v0, v30, v25
	;; [unrolled: 1-line block ×4, first 2 shown]
	s_waitcnt lgkmcnt(0)
	v_fma_f32 v20, v35, 2.0, -v21
	v_fma_f32 v22, v30, 2.0, -v0
	;; [unrolled: 1-line block ×4, first 2 shown]
	s_barrier
	buffer_gl0_inv
	ds_write2_b32 v28, v20, v22 offset1:88
	ds_write2_b32 v36, v21, v23 offset0:48 offset1:224
	ds_write_b32 v28, v18 offset:2112
	ds_write2_b32 v37, v0, v24 offset0:8 offset1:184
	ds_write_b32 v34, v19 offset:2464
	s_waitcnt lgkmcnt(0)
	s_barrier
	buffer_gl0_inv
	s_and_saveexec_b32 s0, vcc_lo
	s_cbranch_execz .LBB0_21
; %bb.20:
	v_add_co_u32 v18, vcc_lo, 0x1000, v12
	v_add_co_ci_u32_e32 v19, vcc_lo, 0, v13, vcc_lo
	v_add_co_u32 v14, vcc_lo, 0x800, v14
	v_add_co_ci_u32_e32 v15, vcc_lo, 0, v15, vcc_lo
	;; [unrolled: 2-line block ×3, first 2 shown]
	s_clause 0x3
	global_load_dwordx2 v[20:21], v[18:19], off offset:816
	global_load_dwordx2 v[14:15], v[14:15], off offset:752
	;; [unrolled: 1-line block ×4, first 2 shown]
	v_mul_hi_u32 v0, 0xba2e8ba3, v27
	v_add_nc_u32_e32 v24, 0x400, v28
	v_add_nc_u32_e32 v25, 0x600, v28
	v_add_co_u32 v31, vcc_lo, s2, v2
	ds_read2_b32 v[22:23], v28 offset0:88 offset1:176
	ds_read_b32 v35, v28 offset:2464
	ds_read_b32 v36, v29
	v_add_co_ci_u32_e32 v32, vcc_lo, s3, v3, vcc_lo
	ds_read2_b32 v[2:3], v24 offset0:8 offset1:96
	ds_read2_b32 v[24:25], v25 offset0:56 offset1:144
	v_mul_hi_u32 v27, 0xba2e8ba3, v26
	v_lshrrev_b32_e32 v0, 8, v0
	v_add_co_u32 v10, vcc_lo, v31, v10
	v_add_co_ci_u32_e32 v11, vcc_lo, v32, v11, vcc_lo
	v_mul_u32_u24_e32 v0, 0x160, v0
	v_lshrrev_b32_e32 v29, 8, v27
	v_lshlrev_b64 v[27:28], 3, v[0:1]
	v_mad_u32_u24 v0, 0x160, v29, v26
	v_add_co_u32 v29, vcc_lo, 0x800, v10
	v_add_co_ci_u32_e32 v30, vcc_lo, 0, v11, vcc_lo
	v_add_co_u32 v26, vcc_lo, v10, v27
	v_add_co_ci_u32_e32 v27, vcc_lo, v11, v28, vcc_lo
	v_lshlrev_b64 v[0:1], 3, v[0:1]
	v_add_co_u32 v0, vcc_lo, v31, v0
	v_add_co_ci_u32_e32 v1, vcc_lo, v32, v1, vcc_lo
	v_add_co_u32 v31, vcc_lo, 0x1000, v26
	v_add_co_ci_u32_e32 v32, vcc_lo, 0, v27, vcc_lo
	;; [unrolled: 2-line block ×3, first 2 shown]
	s_waitcnt vmcnt(3)
	v_mul_f32_e32 v28, v17, v21
	s_waitcnt lgkmcnt(3)
	v_mul_f32_e32 v21, v35, v21
	s_waitcnt vmcnt(2)
	v_mul_f32_e32 v38, v8, v15
	s_waitcnt vmcnt(1)
	v_mul_f32_e32 v39, v7, v13
	s_waitcnt lgkmcnt(1)
	v_mul_f32_e32 v13, v3, v13
	s_waitcnt lgkmcnt(0)
	v_mul_f32_e32 v15, v24, v15
	s_waitcnt vmcnt(0)
	v_mul_f32_e32 v37, v9, v19
	v_mul_f32_e32 v19, v25, v19
	v_fma_f32 v17, v17, v20, -v21
	v_fmac_f32_e32 v38, v24, v14
	v_fmac_f32_e32 v39, v3, v12
	v_fma_f32 v3, v7, v12, -v13
	v_fma_f32 v14, v8, v14, -v15
	v_fmac_f32_e32 v28, v35, v20
	v_fmac_f32_e32 v37, v25, v18
	v_fma_f32 v9, v9, v18, -v19
	v_sub_f32_e32 v7, v6, v17
	v_sub_f32_e32 v15, v22, v38
	v_sub_f32_e32 v18, v36, v39
	v_sub_f32_e32 v17, v16, v3
	v_sub_f32_e32 v14, v4, v14
	v_sub_f32_e32 v8, v2, v28
	v_sub_f32_e32 v13, v23, v37
	v_sub_f32_e32 v12, v5, v9
	v_fma_f32 v20, v22, 2.0, -v15
	v_fma_f32 v22, v36, 2.0, -v18
	;; [unrolled: 1-line block ×8, first 2 shown]
	global_store_dwordx2 v[29:30], v[17:18], off offset:768
	global_store_dwordx2 v[29:30], v[14:15], off offset:1472
	;; [unrolled: 1-line block ×3, first 2 shown]
	global_store_dwordx2 v[10:11], v[21:22], off
	global_store_dwordx2 v[10:11], v[19:20], off offset:704
	global_store_dwordx2 v[26:27], v[5:6], off offset:1408
	global_store_dwordx2 v[0:1], v[2:3], off
	global_store_dwordx2 v[33:34], v[7:8], off offset:768
.LBB0_21:
	s_endpgm
	.section	.rodata,"a",@progbits
	.p2align	6, 0x0
	.amdhsa_kernel fft_rtc_fwd_len704_factors_2_2_2_2_11_2_2_wgs_176_tpt_88_halfLds_sp_ip_CI_unitstride_sbrr_dirReg
		.amdhsa_group_segment_fixed_size 0
		.amdhsa_private_segment_fixed_size 0
		.amdhsa_kernarg_size 88
		.amdhsa_user_sgpr_count 6
		.amdhsa_user_sgpr_private_segment_buffer 1
		.amdhsa_user_sgpr_dispatch_ptr 0
		.amdhsa_user_sgpr_queue_ptr 0
		.amdhsa_user_sgpr_kernarg_segment_ptr 1
		.amdhsa_user_sgpr_dispatch_id 0
		.amdhsa_user_sgpr_flat_scratch_init 0
		.amdhsa_user_sgpr_private_segment_size 0
		.amdhsa_wavefront_size32 1
		.amdhsa_uses_dynamic_stack 0
		.amdhsa_system_sgpr_private_segment_wavefront_offset 0
		.amdhsa_system_sgpr_workgroup_id_x 1
		.amdhsa_system_sgpr_workgroup_id_y 0
		.amdhsa_system_sgpr_workgroup_id_z 0
		.amdhsa_system_sgpr_workgroup_info 0
		.amdhsa_system_vgpr_workitem_id 0
		.amdhsa_next_free_vgpr 65
		.amdhsa_next_free_sgpr 21
		.amdhsa_reserve_vcc 1
		.amdhsa_reserve_flat_scratch 0
		.amdhsa_float_round_mode_32 0
		.amdhsa_float_round_mode_16_64 0
		.amdhsa_float_denorm_mode_32 3
		.amdhsa_float_denorm_mode_16_64 3
		.amdhsa_dx10_clamp 1
		.amdhsa_ieee_mode 1
		.amdhsa_fp16_overflow 0
		.amdhsa_workgroup_processor_mode 1
		.amdhsa_memory_ordered 1
		.amdhsa_forward_progress 0
		.amdhsa_shared_vgpr_count 0
		.amdhsa_exception_fp_ieee_invalid_op 0
		.amdhsa_exception_fp_denorm_src 0
		.amdhsa_exception_fp_ieee_div_zero 0
		.amdhsa_exception_fp_ieee_overflow 0
		.amdhsa_exception_fp_ieee_underflow 0
		.amdhsa_exception_fp_ieee_inexact 0
		.amdhsa_exception_int_div_zero 0
	.end_amdhsa_kernel
	.text
.Lfunc_end0:
	.size	fft_rtc_fwd_len704_factors_2_2_2_2_11_2_2_wgs_176_tpt_88_halfLds_sp_ip_CI_unitstride_sbrr_dirReg, .Lfunc_end0-fft_rtc_fwd_len704_factors_2_2_2_2_11_2_2_wgs_176_tpt_88_halfLds_sp_ip_CI_unitstride_sbrr_dirReg
                                        ; -- End function
	.section	.AMDGPU.csdata,"",@progbits
; Kernel info:
; codeLenInByte = 6868
; NumSgprs: 23
; NumVgprs: 65
; ScratchSize: 0
; MemoryBound: 0
; FloatMode: 240
; IeeeMode: 1
; LDSByteSize: 0 bytes/workgroup (compile time only)
; SGPRBlocks: 2
; VGPRBlocks: 8
; NumSGPRsForWavesPerEU: 23
; NumVGPRsForWavesPerEU: 65
; Occupancy: 12
; WaveLimiterHint : 1
; COMPUTE_PGM_RSRC2:SCRATCH_EN: 0
; COMPUTE_PGM_RSRC2:USER_SGPR: 6
; COMPUTE_PGM_RSRC2:TRAP_HANDLER: 0
; COMPUTE_PGM_RSRC2:TGID_X_EN: 1
; COMPUTE_PGM_RSRC2:TGID_Y_EN: 0
; COMPUTE_PGM_RSRC2:TGID_Z_EN: 0
; COMPUTE_PGM_RSRC2:TIDIG_COMP_CNT: 0
	.text
	.p2alignl 6, 3214868480
	.fill 48, 4, 3214868480
	.type	__hip_cuid_afd1d45822461938,@object ; @__hip_cuid_afd1d45822461938
	.section	.bss,"aw",@nobits
	.globl	__hip_cuid_afd1d45822461938
__hip_cuid_afd1d45822461938:
	.byte	0                               ; 0x0
	.size	__hip_cuid_afd1d45822461938, 1

	.ident	"AMD clang version 19.0.0git (https://github.com/RadeonOpenCompute/llvm-project roc-6.4.0 25133 c7fe45cf4b819c5991fe208aaa96edf142730f1d)"
	.section	".note.GNU-stack","",@progbits
	.addrsig
	.addrsig_sym __hip_cuid_afd1d45822461938
	.amdgpu_metadata
---
amdhsa.kernels:
  - .args:
      - .actual_access:  read_only
        .address_space:  global
        .offset:         0
        .size:           8
        .value_kind:     global_buffer
      - .offset:         8
        .size:           8
        .value_kind:     by_value
      - .actual_access:  read_only
        .address_space:  global
        .offset:         16
        .size:           8
        .value_kind:     global_buffer
      - .actual_access:  read_only
        .address_space:  global
        .offset:         24
        .size:           8
        .value_kind:     global_buffer
      - .offset:         32
        .size:           8
        .value_kind:     by_value
      - .actual_access:  read_only
        .address_space:  global
        .offset:         40
        .size:           8
        .value_kind:     global_buffer
      - .actual_access:  read_only
        .address_space:  global
        .offset:         48
        .size:           8
        .value_kind:     global_buffer
      - .offset:         56
        .size:           4
        .value_kind:     by_value
      - .actual_access:  read_only
        .address_space:  global
        .offset:         64
        .size:           8
        .value_kind:     global_buffer
      - .actual_access:  read_only
        .address_space:  global
        .offset:         72
        .size:           8
        .value_kind:     global_buffer
      - .address_space:  global
        .offset:         80
        .size:           8
        .value_kind:     global_buffer
    .group_segment_fixed_size: 0
    .kernarg_segment_align: 8
    .kernarg_segment_size: 88
    .language:       OpenCL C
    .language_version:
      - 2
      - 0
    .max_flat_workgroup_size: 176
    .name:           fft_rtc_fwd_len704_factors_2_2_2_2_11_2_2_wgs_176_tpt_88_halfLds_sp_ip_CI_unitstride_sbrr_dirReg
    .private_segment_fixed_size: 0
    .sgpr_count:     23
    .sgpr_spill_count: 0
    .symbol:         fft_rtc_fwd_len704_factors_2_2_2_2_11_2_2_wgs_176_tpt_88_halfLds_sp_ip_CI_unitstride_sbrr_dirReg.kd
    .uniform_work_group_size: 1
    .uses_dynamic_stack: false
    .vgpr_count:     65
    .vgpr_spill_count: 0
    .wavefront_size: 32
    .workgroup_processor_mode: 1
amdhsa.target:   amdgcn-amd-amdhsa--gfx1030
amdhsa.version:
  - 1
  - 2
...

	.end_amdgpu_metadata
